;; amdgpu-corpus repo=ROCm/rocFFT kind=compiled arch=gfx950 opt=O3
	.text
	.amdgcn_target "amdgcn-amd-amdhsa--gfx950"
	.amdhsa_code_object_version 6
	.protected	fft_rtc_back_len200_factors_2_5_10_2_wgs_200_tpt_20_dim2_sp_ip_CI_sbcc_twdbase8_2step_dirReg_intrinsicReadWrite ; -- Begin function fft_rtc_back_len200_factors_2_5_10_2_wgs_200_tpt_20_dim2_sp_ip_CI_sbcc_twdbase8_2step_dirReg_intrinsicReadWrite
	.globl	fft_rtc_back_len200_factors_2_5_10_2_wgs_200_tpt_20_dim2_sp_ip_CI_sbcc_twdbase8_2step_dirReg_intrinsicReadWrite
	.p2align	8
	.type	fft_rtc_back_len200_factors_2_5_10_2_wgs_200_tpt_20_dim2_sp_ip_CI_sbcc_twdbase8_2step_dirReg_intrinsicReadWrite,@function
fft_rtc_back_len200_factors_2_5_10_2_wgs_200_tpt_20_dim2_sp_ip_CI_sbcc_twdbase8_2step_dirReg_intrinsicReadWrite: ; @fft_rtc_back_len200_factors_2_5_10_2_wgs_200_tpt_20_dim2_sp_ip_CI_sbcc_twdbase8_2step_dirReg_intrinsicReadWrite
; %bb.0:
	s_load_dwordx4 s[4:7], s[0:1], 0x10
	s_mov_b32 s3, 0
	s_waitcnt lgkmcnt(0)
	s_load_dwordx2 s[10:11], s[4:5], 0x8
	s_load_dwordx2 s[8:9], s[0:1], 0x50
	s_nop 0
	s_load_dwordx2 s[4:5], s[6:7], 0x0
	s_waitcnt lgkmcnt(0)
	s_add_u32 s5, s10, -1
	s_addc_u32 s12, s11, -1
	s_add_u32 s13, 0, 0x99986000
	s_addc_u32 s14, 0, 0x59
	s_mul_hi_u32 s16, s13, -10
	s_add_i32 s14, s14, 0x19999940
	s_sub_i32 s16, s16, s13
	s_mul_i32 s19, s14, -10
	s_mul_i32 s15, s13, -10
	s_add_i32 s16, s16, s19
	s_mul_hi_u32 s17, s14, s15
	s_mul_i32 s18, s14, s15
	s_mul_i32 s20, s13, s16
	s_mul_hi_u32 s15, s13, s15
	s_mul_hi_u32 s19, s13, s16
	s_add_u32 s15, s15, s20
	s_addc_u32 s19, 0, s19
	s_add_u32 s15, s15, s18
	s_mul_hi_u32 s20, s14, s16
	s_addc_u32 s15, s19, s17
	s_addc_u32 s17, s20, 0
	s_mul_i32 s16, s14, s16
	s_add_u32 s15, s15, s16
	v_mov_b32_e32 v1, s15
	s_addc_u32 s16, 0, s17
	v_add_co_u32_e32 v1, vcc, s13, v1
	s_cmp_lg_u64 vcc, 0
	s_addc_u32 s13, s14, s16
	v_readfirstlane_b32 s16, v1
	s_mul_i32 s15, s5, s13
	s_mul_hi_u32 s17, s5, s16
	s_mul_hi_u32 s14, s5, s13
	s_add_u32 s15, s17, s15
	s_addc_u32 s14, 0, s14
	s_mul_hi_u32 s18, s12, s16
	s_mul_i32 s16, s12, s16
	s_add_u32 s15, s15, s16
	s_mul_hi_u32 s17, s12, s13
	s_addc_u32 s14, s14, s18
	s_addc_u32 s15, s17, 0
	s_mul_i32 s13, s12, s13
	s_add_u32 s13, s14, s13
	s_addc_u32 s14, 0, s15
	s_add_u32 s15, s13, 1
	s_addc_u32 s16, s14, 0
	s_add_u32 s17, s13, 2
	s_mul_i32 s19, s14, 10
	s_mul_hi_u32 s20, s13, 10
	s_addc_u32 s18, s14, 0
	s_add_i32 s20, s20, s19
	s_mul_i32 s19, s13, 10
	v_mov_b32_e32 v1, s19
	v_sub_co_u32_e32 v1, vcc, s5, v1
	s_cmp_lg_u64 vcc, 0
	s_subb_u32 s5, s12, s20
	v_subrev_co_u32_e32 v2, vcc, 10, v1
	s_cmp_lg_u64 vcc, 0
	s_subb_u32 s12, s5, 0
	v_readfirstlane_b32 s19, v2
	s_cmp_gt_u32 s19, 9
	s_cselect_b32 s19, -1, 0
	s_cmp_eq_u32 s12, 0
	s_cselect_b32 s12, s19, -1
	s_cmp_lg_u32 s12, 0
	s_cselect_b32 s12, s17, s15
	s_cselect_b32 s15, s18, s16
	v_readfirstlane_b32 s16, v1
	s_cmp_gt_u32 s16, 9
	s_cselect_b32 s16, -1, 0
	s_cmp_eq_u32 s5, 0
	s_cselect_b32 s5, s16, -1
	s_cmp_lg_u32 s5, 0
	s_cselect_b32 s12, s12, s13
	s_cselect_b32 s5, s15, s14
	s_add_u32 s12, s12, 1
	s_addc_u32 s13, s5, 0
	v_mov_b64_e32 v[2:3], s[12:13]
	v_cmp_lt_u64_e32 vcc, s[2:3], v[2:3]
	s_mov_b64 s[14:15], 0
	s_cbranch_vccnz .LBB0_2
; %bb.1:
	v_cvt_f32_u32_e32 v1, s12
	s_sub_i32 s3, 0, s12
	v_rcp_iflag_f32_e32 v1, v1
	s_nop 0
	v_mul_f32_e32 v1, 0x4f7ffffe, v1
	v_cvt_u32_f32_e32 v1, v1
	s_nop 0
	v_readfirstlane_b32 s5, v1
	s_mul_i32 s3, s3, s5
	s_mul_hi_u32 s3, s5, s3
	s_add_i32 s5, s5, s3
	s_mul_hi_u32 s3, s2, s5
	s_mul_i32 s14, s3, s12
	s_sub_i32 s14, s2, s14
	s_add_i32 s5, s3, 1
	s_sub_i32 s15, s14, s12
	s_cmp_ge_u32 s14, s12
	s_cselect_b32 s3, s5, s3
	s_cselect_b32 s14, s15, s14
	s_add_i32 s5, s3, 1
	s_cmp_ge_u32 s14, s12
	s_cselect_b32 s14, s5, s3
.LBB0_2:
	s_mul_i32 s3, s14, s13
	s_mul_hi_u32 s5, s14, s12
	s_load_dwordx4 s[16:19], s[6:7], 0x8
	s_add_i32 s5, s5, s3
	s_mul_i32 s3, s14, s12
	s_sub_u32 s2, s2, s3
	v_mul_u32_u24_e32 v1, 0x199a, v0
	s_subb_u32 s3, 0, s5
	v_lshrrev_b32_e32 v28, 16, v1
	s_mul_i32 s6, s3, 10
	s_mul_hi_u32 s3, s2, 10
	s_mul_i32 s12, s2, 10
	v_mul_lo_u16_e32 v1, 10, v28
	s_add_i32 s7, s3, s6
	s_waitcnt lgkmcnt(0)
	s_mul_i32 s3, s12, s16
	s_mul_i32 s5, s18, s14
	v_sub_u16_e32 v6, v0, v1
	v_mov_b32_e32 v7, 0
	s_add_u32 s5, s5, s3
	v_mad_u64_u32 v[4:5], s[2:3], s2, 10, v[6:7]
	s_add_u32 s2, s12, 10
	s_addc_u32 s3, s7, 0
	v_mov_b64_e32 v[2:3], s[10:11]
	v_add_u32_e32 v5, s6, v5
	v_cmp_le_u64_e32 vcc, s[2:3], v[2:3]
	v_mad_u64_u32 v[2:3], s[2:3], s16, v6, 0
	v_cmp_gt_u64_e64 s[2:3], s[10:11], v[4:5]
	s_or_b64 s[6:7], vcc, s[2:3]
	v_mov_b32_e32 v8, 0
	v_mov_b32_e32 v9, 0
	s_and_saveexec_b64 s[2:3], s[6:7]
	s_cbranch_execz .LBB0_4
; %bb.3:
	v_mul_lo_u32 v1, s4, v28
	v_add3_u32 v8, s5, v2, v1
	v_mov_b32_e32 v9, v7
	v_lshl_add_u64 v[8:9], v[8:9], 3, s[8:9]
	global_load_dwordx2 v[8:9], v[8:9], off
.LBB0_4:
	s_or_b64 exec, exec, s[2:3]
	v_mov_b32_e32 v11, 0
	s_and_saveexec_b64 s[2:3], s[6:7]
	s_cbranch_execz .LBB0_6
; %bb.5:
	v_add_u32_e32 v1, 0x64, v28
	v_mul_lo_u32 v1, s4, v1
	v_add3_u32 v10, s5, v2, v1
	v_mov_b32_e32 v11, 0
	v_lshl_add_u64 v[10:11], v[10:11], 3, s[8:9]
	global_load_dwordx2 v[10:11], v[10:11], off
	s_waitcnt vmcnt(0)
	v_mov_b32_e32 v7, v10
.LBB0_6:
	s_or_b64 exec, exec, s[2:3]
	v_add_u32_e32 v1, 20, v28
	v_mov_b32_e32 v14, 0
	v_mov_b32_e32 v12, 0
	;; [unrolled: 1-line block ×3, first 2 shown]
	s_and_saveexec_b64 s[2:3], s[6:7]
	s_cbranch_execz .LBB0_8
; %bb.7:
	v_mul_lo_u32 v3, s4, v1
	v_add3_u32 v12, s5, v2, v3
	v_mov_b32_e32 v13, 0
	v_lshl_add_u64 v[12:13], v[12:13], 3, s[8:9]
	global_load_dwordx2 v[12:13], v[12:13], off
.LBB0_8:
	s_or_b64 exec, exec, s[2:3]
	v_mov_b32_e32 v15, 0
	s_and_saveexec_b64 s[2:3], s[6:7]
	s_cbranch_execz .LBB0_10
; %bb.9:
	v_add_u32_e32 v3, 0x78, v28
	v_mul_lo_u32 v3, s4, v3
	v_add3_u32 v14, s5, v2, v3
	v_mov_b32_e32 v15, 0
	v_lshl_add_u64 v[14:15], v[14:15], 3, s[8:9]
	global_load_dwordx2 v[14:15], v[14:15], off
.LBB0_10:
	s_or_b64 exec, exec, s[2:3]
	v_add_u32_e32 v3, 40, v28
	v_mov_b32_e32 v18, 0
	v_mov_b32_e32 v16, 0
	;; [unrolled: 1-line block ×3, first 2 shown]
	s_and_saveexec_b64 s[2:3], s[6:7]
	s_cbranch_execz .LBB0_12
; %bb.11:
	v_mul_lo_u32 v5, s4, v3
	v_add3_u32 v16, s5, v2, v5
	v_mov_b32_e32 v17, 0
	v_lshl_add_u64 v[16:17], v[16:17], 3, s[8:9]
	global_load_dwordx2 v[16:17], v[16:17], off
.LBB0_12:
	s_or_b64 exec, exec, s[2:3]
	v_mov_b32_e32 v19, 0
	s_and_saveexec_b64 s[2:3], s[6:7]
	s_cbranch_execz .LBB0_14
; %bb.13:
	v_add_u32_e32 v5, 0x8c, v28
	v_mul_lo_u32 v5, s4, v5
	v_add3_u32 v18, s5, v2, v5
	v_mov_b32_e32 v19, 0
	v_lshl_add_u64 v[18:19], v[18:19], 3, s[8:9]
	global_load_dwordx2 v[18:19], v[18:19], off
.LBB0_14:
	s_or_b64 exec, exec, s[2:3]
	v_add_u32_e32 v5, 60, v28
	v_mov_b32_e32 v22, 0
	v_mov_b32_e32 v20, 0
	;; [unrolled: 1-line block ×3, first 2 shown]
	s_and_saveexec_b64 s[2:3], s[6:7]
	s_cbranch_execz .LBB0_16
; %bb.15:
	v_mul_lo_u32 v10, s4, v5
	v_add3_u32 v20, s5, v2, v10
	v_mov_b32_e32 v21, 0
	v_lshl_add_u64 v[20:21], v[20:21], 3, s[8:9]
	global_load_dwordx2 v[20:21], v[20:21], off
.LBB0_16:
	s_or_b64 exec, exec, s[2:3]
	v_mov_b32_e32 v23, 0
	s_and_saveexec_b64 s[2:3], s[6:7]
	s_cbranch_execz .LBB0_18
; %bb.17:
	v_or_b32_e32 v10, 0xa0, v28
	v_mul_lo_u32 v10, s4, v10
	v_add3_u32 v22, s5, v2, v10
	v_mov_b32_e32 v23, 0
	v_lshl_add_u64 v[22:23], v[22:23], 3, s[8:9]
	global_load_dwordx2 v[22:23], v[22:23], off
.LBB0_18:
	s_or_b64 exec, exec, s[2:3]
	s_load_dwordx2 s[2:3], s[0:1], 0x0
	v_add_u32_e32 v29, 0x50, v28
	v_mov_b32_e32 v26, 0
	v_mov_b32_e32 v24, 0
	;; [unrolled: 1-line block ×3, first 2 shown]
	s_and_saveexec_b64 s[10:11], s[6:7]
	s_cbranch_execz .LBB0_20
; %bb.19:
	v_mul_lo_u32 v10, s4, v29
	v_add3_u32 v24, s5, v2, v10
	v_mov_b32_e32 v25, 0
	v_lshl_add_u64 v[24:25], v[24:25], 3, s[8:9]
	global_load_dwordx2 v[24:25], v[24:25], off
.LBB0_20:
	s_or_b64 exec, exec, s[10:11]
	v_mov_b32_e32 v27, 0
	s_and_saveexec_b64 s[10:11], s[6:7]
	s_cbranch_execz .LBB0_22
; %bb.21:
	v_add_u32_e32 v10, 0xb4, v28
	v_mul_lo_u32 v10, s4, v10
	v_add3_u32 v26, s5, v2, v10
	v_mov_b32_e32 v27, 0
	v_lshl_add_u64 v[26:27], v[26:27], 3, s[8:9]
	global_load_dwordx2 v[26:27], v[26:27], off
.LBB0_22:
	s_or_b64 exec, exec, s[10:11]
	v_mov_b32_e32 v10, v7
	s_waitcnt vmcnt(0)
	v_pk_add_f32 v[10:11], v[8:9], v[10:11] neg_lo:[0,1] neg_hi:[0,1]
	v_mul_u32_u24_e32 v7, 0xa0, v28
	v_lshlrev_b32_e32 v54, 3, v6
	v_pk_add_f32 v[14:15], v[12:13], v[14:15] neg_lo:[0,1] neg_hi:[0,1]
	v_add3_u32 v30, 0, v7, v54
	v_pk_fma_f32 v[6:7], v[8:9], 2.0, v[10:11] op_sel_hi:[1,0,1] neg_lo:[0,0,1] neg_hi:[0,0,1]
	v_pk_add_f32 v[18:19], v[16:17], v[18:19] neg_lo:[0,1] neg_hi:[0,1]
	ds_write2_b64 v30, v[6:7], v[10:11] offset1:10
	v_pk_fma_f32 v[6:7], v[12:13], 2.0, v[14:15] op_sel_hi:[1,0,1] neg_lo:[0,0,1] neg_hi:[0,0,1]
	v_add_u32_e32 v8, 0x800, v30
	v_pk_add_f32 v[22:23], v[20:21], v[22:23] neg_lo:[0,1] neg_hi:[0,1]
	ds_write2_b64 v8, v[6:7], v[14:15] offset0:144 offset1:154
	v_pk_fma_f32 v[6:7], v[16:17], 2.0, v[18:19] op_sel_hi:[1,0,1] neg_lo:[0,0,1] neg_hi:[0,0,1]
	v_add_u32_e32 v8, 0x1800, v30
	v_pk_add_f32 v[26:27], v[24:25], v[26:27] neg_lo:[0,1] neg_hi:[0,1]
	ds_write2_b64 v8, v[6:7], v[18:19] offset0:32 offset1:42
	v_pk_fma_f32 v[6:7], v[20:21], 2.0, v[22:23] op_sel_hi:[1,0,1] neg_lo:[0,0,1] neg_hi:[0,0,1]
	v_add_u32_e32 v8, 0x2000, v30
	v_and_b32_e32 v10, 1, v28
	ds_write2_b64 v8, v[6:7], v[22:23] offset0:176 offset1:186
	v_pk_fma_f32 v[6:7], v[24:25], 2.0, v[26:27] op_sel_hi:[1,0,1] neg_lo:[0,0,1] neg_hi:[0,0,1]
	v_add_u32_e32 v8, 0x3000, v30
	v_lshlrev_b32_e32 v11, 5, v10
	ds_write2_b64 v8, v[6:7], v[26:27] offset0:64 offset1:74
	s_waitcnt lgkmcnt(0)
	s_barrier
	global_load_dwordx4 v[6:9], v11, s[2:3]
	global_load_dwordx4 v[16:19], v11, s[2:3] offset:16
	s_movk_i32 s10, 0xffb0
	v_lshrrev_b32_e32 v13, 1, v28
	v_lshrrev_b32_e32 v14, 1, v1
	v_mul_i32_i24_e32 v12, 0xffffffb0, v29
	s_movk_i32 s12, 0x3200
	v_mul_i32_i24_e32 v20, 0xffffffb0, v1
	s_movk_i32 s13, 0xc80
	v_mul_u32_u24_e32 v21, 10, v13
	v_mul_u32_u24_e32 v22, 10, v14
	v_mad_i32_i24 v13, v28, s10, v30
	v_mul_i32_i24_e32 v11, 0xffffffb0, v3
	s_movk_i32 s11, 0x1900
	v_add3_u32 v15, v30, s12, v12
	v_add3_u32 v12, v30, s13, v20
	v_or_b32_e32 v20, v21, v10
	v_or_b32_e32 v21, v22, v10
	v_add_u32_e32 v22, 0x2400, v13
	v_add_u32_e32 v24, 0x3200, v13
	;; [unrolled: 1-line block ×3, first 2 shown]
	v_add3_u32 v14, v30, s11, v11
	ds_read_b64 v[10:11], v15
	v_mul_u32_u24_e32 v40, 0x50, v20
	v_mul_u32_u24_e32 v41, 0x50, v21
	ds_read_b64 v[30:31], v12
	ds_read_b64 v[32:33], v14
	ds_read_b64 v[34:35], v13 offset:4800
	ds_read_b64 v[36:37], v13
	ds_read2_b32 v[38:39], v23 offset0:208 offset1:209
	ds_read2_b64 v[20:23], v22 offset0:48 offset1:248
	ds_read2_b64 v[24:27], v24 offset1:200
	v_add3_u32 v55, 0, v40, v54
	v_add3_u32 v56, 0, v41, v54
	s_waitcnt lgkmcnt(2)
	v_mov_b32_e32 v40, v39
	s_mov_b32 s14, 0x3f737871
	s_mov_b32 s10, 0x3f167918
	;; [unrolled: 1-line block ×3, first 2 shown]
	s_waitcnt lgkmcnt(0)
	s_barrier
	s_mov_b32 s16, 0x3f4f1bbd
	s_mov_b32 s17, s10
	s_waitcnt vmcnt(1)
	v_pk_mul_f32 v[42:43], v[6:7], v[34:35] op_sel:[0,1]
	v_pk_mul_f32 v[40:41], v[40:41], v[8:9] op_sel_hi:[0,1]
	s_waitcnt vmcnt(0)
	v_pk_mul_f32 v[44:45], v[16:17], v[20:21] op_sel:[0,1]
	v_pk_mul_f32 v[46:47], v[18:19], v[24:25] op_sel:[0,1]
	;; [unrolled: 1-line block ×4, first 2 shown]
	v_pk_fma_f32 v[52:53], v[6:7], v[34:35], v[42:43] op_sel:[0,0,1] op_sel_hi:[1,1,0]
	v_pk_fma_f32 v[34:35], v[6:7], v[34:35], v[42:43] op_sel:[0,0,1] op_sel_hi:[1,0,0] neg_lo:[1,0,0] neg_hi:[1,0,0]
	v_pk_fma_f32 v[42:43], v[8:9], v[38:39], v[40:41] op_sel:[0,0,1] op_sel_hi:[1,1,0]
	v_pk_fma_f32 v[38:39], v[8:9], v[38:39], v[40:41] op_sel:[0,0,1] op_sel_hi:[1,0,0] neg_lo:[1,0,0] neg_hi:[1,0,0]
	;; [unrolled: 2-line block ×6, first 2 shown]
	v_mov_b32_e32 v41, v21
	v_mov_b32_e32 v33, v9
	v_pk_mul_f32 v[8:9], v[22:23], v[16:17] op_sel:[0,1]
	v_mov_b32_e32 v45, v25
	v_pk_fma_f32 v[10:11], v[22:23], v[16:17], v[8:9] op_sel:[0,0,1] op_sel_hi:[1,1,0]
	v_pk_fma_f32 v[8:9], v[22:23], v[16:17], v[8:9] op_sel:[0,0,1] op_sel_hi:[1,0,0] neg_lo:[0,0,1] neg_hi:[0,0,1]
	v_mov_b32_e32 v47, v7
	v_mov_b32_e32 v8, v19
	;; [unrolled: 1-line block ×3, first 2 shown]
	v_pk_mul_f32 v[8:9], v[26:27], v[8:9] op_sel_hi:[1,0]
	v_pk_add_f32 v[20:21], v[44:45], v[40:41] neg_lo:[0,1] neg_hi:[0,1]
	v_pk_fma_f32 v[16:17], v[26:27], v[18:19], v[8:9] op_sel:[0,0,1] op_sel_hi:[1,1,0]
	v_pk_fma_f32 v[8:9], v[26:27], v[18:19], v[8:9] op_sel:[0,0,1] op_sel_hi:[1,0,0] neg_lo:[0,0,1] neg_hi:[0,0,1]
	v_pk_add_f32 v[18:19], v[32:33], v[40:41]
	v_pk_add_f32 v[22:23], v[46:47], v[44:45] neg_lo:[0,1] neg_hi:[0,1]
	v_pk_fma_f32 v[18:19], v[18:19], 0.5, v[36:37] op_sel_hi:[1,0,1] neg_lo:[1,0,0] neg_hi:[1,0,0]
	v_pk_add_f32 v[26:27], v[46:47], v[32:33] neg_lo:[0,1] neg_hi:[0,1]
	v_mov_b32_e32 v17, v9
	v_pk_add_f32 v[8:9], v[36:37], v[46:47]
	v_pk_add_f32 v[24:25], v[32:33], v[40:41] neg_lo:[0,1] neg_hi:[0,1]
	v_pk_add_f32 v[20:21], v[26:27], v[20:21]
	v_pk_fma_f32 v[26:27], v[22:23], s[14:15], v[18:19] op_sel:[1,0,0] op_sel_hi:[0,0,1] neg_lo:[1,0,0] neg_hi:[1,0,0]
	v_pk_fma_f32 v[18:19], v[22:23], s[14:15], v[18:19] op_sel:[1,0,0] op_sel_hi:[0,0,1]
	v_pk_add_f32 v[8:9], v[8:9], v[32:33]
	v_pk_fma_f32 v[18:19], v[24:25], s[10:11], v[18:19] op_sel:[1,0,0] op_sel_hi:[0,0,1]
	v_pk_fma_f32 v[26:27], v[24:25], s[10:11], v[26:27] op_sel:[1,0,0] op_sel_hi:[0,0,1] neg_lo:[1,0,0] neg_hi:[1,0,0]
	v_mov_b32_e32 v53, v35
	v_pk_add_f32 v[8:9], v[8:9], v[40:41]
	v_mov_b32_e32 v34, v26
	v_mov_b32_e32 v35, v19
	v_pk_add_f32 v[8:9], v[8:9], v[44:45]
	v_pk_fma_f32 v[34:35], v[20:21], s[12:13], v[34:35] op_sel_hi:[1,0,1]
	ds_write2_b64 v55, v[8:9], v[34:35] offset1:20
	v_pk_add_f32 v[34:35], v[46:47], v[44:45]
	v_pk_add_f32 v[8:9], v[40:41], v[44:45] neg_lo:[0,1] neg_hi:[0,1]
	v_pk_fma_f32 v[34:35], v[34:35], 0.5, v[36:37] op_sel_hi:[1,0,1] neg_lo:[1,0,0] neg_hi:[1,0,0]
	v_pk_add_f32 v[32:33], v[32:33], v[46:47] neg_lo:[0,1] neg_hi:[0,1]
	v_mov_b32_e32 v19, v27
	v_pk_add_f32 v[8:9], v[32:33], v[8:9]
	v_pk_fma_f32 v[32:33], v[24:25], s[14:15], v[34:35] op_sel:[1,0,0] op_sel_hi:[0,0,1]
	v_pk_fma_f32 v[24:25], v[24:25], s[14:15], v[34:35] op_sel:[1,0,0] op_sel_hi:[0,0,1] neg_lo:[1,0,0] neg_hi:[1,0,0]
	v_pk_fma_f32 v[24:25], v[22:23], s[10:11], v[24:25] op_sel:[1,0,0] op_sel_hi:[0,0,1]
	v_pk_fma_f32 v[22:23], v[22:23], s[10:11], v[32:33] op_sel:[1,0,0] op_sel_hi:[0,0,1] neg_lo:[1,0,0] neg_hi:[1,0,0]
	v_mov_b32_e32 v32, v22
	v_mov_b32_e32 v33, v25
	;; [unrolled: 1-line block ×3, first 2 shown]
	v_pk_fma_f32 v[32:33], v[8:9], s[12:13], v[32:33] op_sel_hi:[1,0,1]
	v_pk_fma_f32 v[8:9], v[8:9], s[12:13], v[24:25] op_sel_hi:[1,0,1]
	v_mov_b32_e32 v43, v39
	ds_write2_b64 v55, v[32:33], v[8:9] offset0:40 offset1:60
	v_pk_fma_f32 v[8:9], v[20:21], s[12:13], v[18:19] op_sel_hi:[1,0,1]
	ds_write_b64 v55, v[8:9] offset:640
	v_pk_add_f32 v[8:9], v[42:43], v[10:11]
	v_pk_add_f32 v[18:19], v[52:53], v[16:17] neg_lo:[0,1] neg_hi:[0,1]
	v_pk_fma_f32 v[8:9], v[8:9], 0.5, v[30:31] op_sel_hi:[1,0,1] neg_lo:[1,0,0] neg_hi:[1,0,0]
	v_pk_mul_f32 v[20:21], v[18:19], s[14:15] op_sel_hi:[1,0]
	v_pk_add_f32 v[22:23], v[42:43], v[10:11] neg_lo:[0,1] neg_hi:[0,1]
	v_pk_add_f32 v[26:27], v[52:53], v[42:43] neg_lo:[0,1] neg_hi:[0,1]
	;; [unrolled: 1-line block ×3, first 2 shown]
	v_pk_add_f32 v[6:7], v[30:31], v[52:53]
	v_pk_mul_f32 v[24:25], v[22:23], s[10:11] op_sel_hi:[1,0]
	v_pk_add_f32 v[26:27], v[26:27], v[32:33]
	v_pk_add_f32 v[32:33], v[8:9], v[20:21] op_sel:[0,1] op_sel_hi:[1,0] neg_lo:[0,1] neg_hi:[0,1]
	v_pk_add_f32 v[8:9], v[8:9], v[20:21] op_sel:[0,1] op_sel_hi:[1,0]
	v_pk_add_f32 v[6:7], v[6:7], v[42:43]
	v_pk_add_f32 v[8:9], v[8:9], v[24:25] op_sel:[0,1] op_sel_hi:[1,0]
	v_pk_add_f32 v[20:21], v[32:33], v[24:25] op_sel:[0,1] op_sel_hi:[1,0] neg_lo:[0,1] neg_hi:[0,1]
	v_pk_add_f32 v[6:7], v[6:7], v[10:11]
	v_mov_b32_e32 v24, v20
	v_mov_b32_e32 v25, v9
	v_pk_add_f32 v[6:7], v[6:7], v[16:17]
	v_pk_fma_f32 v[24:25], v[26:27], s[12:13], v[24:25] op_sel_hi:[1,0,1]
	ds_write2_b64 v56, v[6:7], v[24:25] offset1:20
	v_pk_add_f32 v[6:7], v[52:53], v[16:17]
	v_pk_add_f32 v[10:11], v[10:11], v[16:17] neg_lo:[0,1] neg_hi:[0,1]
	v_pk_fma_f32 v[6:7], v[6:7], 0.5, v[30:31] op_sel_hi:[1,0,1] neg_lo:[1,0,0] neg_hi:[1,0,0]
	v_pk_mul_f32 v[16:17], v[22:23], s[14:15] op_sel_hi:[1,0]
	v_pk_mul_f32 v[18:19], v[18:19], s[10:11] op_sel_hi:[1,0]
	v_pk_add_f32 v[22:23], v[6:7], v[16:17] op_sel:[0,1] op_sel_hi:[1,0]
	v_pk_add_f32 v[6:7], v[6:7], v[16:17] op_sel:[0,1] op_sel_hi:[1,0] neg_lo:[0,1] neg_hi:[0,1]
	v_pk_add_f32 v[24:25], v[42:43], v[52:53] neg_lo:[0,1] neg_hi:[0,1]
	v_pk_add_f32 v[6:7], v[6:7], v[18:19] op_sel:[0,1] op_sel_hi:[1,0]
	v_pk_add_f32 v[16:17], v[22:23], v[18:19] op_sel:[0,1] op_sel_hi:[1,0] neg_lo:[0,1] neg_hi:[0,1]
	v_pk_add_f32 v[10:11], v[24:25], v[10:11]
	v_mov_b32_e32 v18, v16
	v_mov_b32_e32 v19, v7
	;; [unrolled: 1-line block ×3, first 2 shown]
	v_pk_fma_f32 v[18:19], v[10:11], s[12:13], v[18:19] op_sel_hi:[1,0,1]
	v_pk_fma_f32 v[6:7], v[10:11], s[12:13], v[6:7] op_sel_hi:[1,0,1]
	v_mov_b32_e32 v9, v21
	ds_write2_b64 v56, v[18:19], v[6:7] offset0:40 offset1:60
	v_pk_fma_f32 v[6:7], v[26:27], s[12:13], v[8:9] op_sel_hi:[1,0,1]
	ds_write_b64 v56, v[6:7] offset:640
	v_mul_lo_u16_e32 v6, 26, v28
	v_lshrrev_b16_e32 v18, 8, v6
	v_mul_lo_u16_e32 v6, 10, v18
	v_sub_u16_e32 v6, v28, v6
	v_and_b32_e32 v19, 0xff, v6
	v_mul_u32_u24_e32 v6, 9, v19
	v_lshlrev_b32_e32 v16, 3, v6
	s_waitcnt lgkmcnt(0)
	s_barrier
	global_load_dwordx4 v[6:9], v16, s[2:3] offset:64
	global_load_dwordx4 v[20:23], v16, s[2:3] offset:80
	;; [unrolled: 1-line block ×4, first 2 shown]
	global_load_dwordx2 v[10:11], v16, s[2:3] offset:128
	s_movk_i32 s11, 0x64
	v_mad_u32_u24 v18, v18, s11, v19
	v_mul_u32_u24_e32 v16, 0x50, v5
	v_mul_u32_u24_e32 v18, 0x50, v18
	v_add3_u32 v17, 0, v16, v54
	v_add_u32_e32 v16, 0x1e00, v13
	v_add3_u32 v19, 0, v18, v54
	v_add_u32_e32 v18, 0x2b00, v13
	ds_read_b64 v[42:43], v12
	ds_read_b64 v[44:45], v17
	;; [unrolled: 1-line block ×3, first 2 shown]
	ds_read2_b64 v[34:37], v16 offset0:40 offset1:240
	ds_read_b64 v[48:49], v13
	ds_read2_b64 v[38:41], v18 offset0:24 offset1:224
	ds_read_b64 v[50:51], v14
	ds_read_b64 v[52:53], v13 offset:14400
	s_mov_b32 s13, s10
	s_waitcnt lgkmcnt(0)
	s_barrier
	s_waitcnt vmcnt(4)
	v_pk_mul_f32 v[54:55], v[6:7], v[42:43] op_sel:[0,1]
	s_nop 0
	v_pk_fma_f32 v[56:57], v[6:7], v[42:43], v[54:55] op_sel:[0,0,1] op_sel_hi:[1,0,0]
	v_pk_fma_f32 v[6:7], v[6:7], v[42:43], v[54:55] op_sel:[0,0,1] op_sel_hi:[1,0,0] neg_lo:[1,0,0] neg_hi:[1,0,0]
	v_pk_mul_f32 v[42:43], v[8:9], v[50:51] op_sel:[0,1]
	s_waitcnt vmcnt(2)
	v_mov_b32_e32 v6, v27
	v_pk_fma_f32 v[54:55], v[8:9], v[50:51], v[42:43] op_sel:[0,0,1] op_sel_hi:[1,1,0]
	v_pk_fma_f32 v[8:9], v[8:9], v[50:51], v[42:43] op_sel:[0,0,1] op_sel_hi:[1,0,0] neg_lo:[1,0,0] neg_hi:[1,0,0]
	v_mov_b32_e32 v57, v7
	v_mov_b32_e32 v55, v9
	v_pk_mul_f32 v[8:9], v[20:21], v[44:45] op_sel:[0,1]
	s_nop 0
	v_pk_fma_f32 v[42:43], v[20:21], v[44:45], v[8:9] op_sel:[0,0,1] op_sel_hi:[1,1,0]
	v_pk_fma_f32 v[8:9], v[20:21], v[44:45], v[8:9] op_sel:[0,0,1] op_sel_hi:[1,0,0] neg_lo:[1,0,0] neg_hi:[1,0,0]
	v_pk_mul_f32 v[20:21], v[22:23], v[46:47] op_sel:[0,1]
	v_mov_b32_e32 v43, v9
	v_pk_fma_f32 v[44:45], v[22:23], v[46:47], v[20:21] op_sel:[0,0,1] op_sel_hi:[1,1,0]
	v_pk_fma_f32 v[20:21], v[22:23], v[46:47], v[20:21] op_sel:[0,0,1] op_sel_hi:[1,0,0] neg_lo:[1,0,0] neg_hi:[1,0,0]
	v_mov_b32_e32 v46, v42
	v_mov_b32_e32 v45, v21
	v_pk_mul_f32 v[20:21], v[24:25], v[34:35] op_sel:[0,1]
	s_nop 0
	v_pk_fma_f32 v[22:23], v[24:25], v[34:35], v[20:21] op_sel:[0,0,1] op_sel_hi:[1,1,0]
	v_pk_fma_f32 v[20:21], v[24:25], v[34:35], v[20:21] op_sel:[0,0,1] op_sel_hi:[1,0,0] neg_lo:[1,0,0] neg_hi:[1,0,0]
	v_pk_mul_f32 v[24:25], v[36:37], v[6:7] op_sel_hi:[1,0]
	s_waitcnt vmcnt(1)
	v_mov_b32_e32 v6, v33
	v_pk_fma_f32 v[34:35], v[36:37], v[26:27], v[24:25] op_sel:[0,0,1] op_sel_hi:[1,1,0]
	v_pk_fma_f32 v[24:25], v[36:37], v[26:27], v[24:25] op_sel:[0,0,1] op_sel_hi:[1,0,0] neg_lo:[0,0,1] neg_hi:[0,0,1]
	v_mov_b32_e32 v50, v22
	v_mov_b32_e32 v35, v25
	v_pk_mul_f32 v[24:25], v[38:39], v[30:31] op_sel:[0,1]
	v_mov_b32_e32 v23, v21
	v_pk_fma_f32 v[26:27], v[38:39], v[30:31], v[24:25] op_sel:[0,0,1] op_sel_hi:[1,1,0]
	v_pk_fma_f32 v[24:25], v[38:39], v[30:31], v[24:25] op_sel:[0,0,1] op_sel_hi:[1,0,0] neg_lo:[0,0,1] neg_hi:[0,0,1]
	v_pk_mul_f32 v[30:31], v[40:41], v[6:7] op_sel_hi:[1,0]
	v_mov_b32_e32 v51, v26
	v_pk_fma_f32 v[36:37], v[40:41], v[32:33], v[30:31] op_sel:[0,0,1] op_sel_hi:[1,1,0]
	v_pk_fma_f32 v[30:31], v[40:41], v[32:33], v[30:31] op_sel:[0,0,1] op_sel_hi:[1,0,0] neg_lo:[0,0,1] neg_hi:[0,0,1]
	v_mov_b32_e32 v27, v25
	v_mov_b32_e32 v37, v31
	s_waitcnt vmcnt(0)
	v_pk_mul_f32 v[30:31], v[52:53], v[10:11] op_sel:[0,1]
	v_pk_add_f32 v[38:39], v[22:23], v[26:27]
	v_pk_fma_f32 v[32:33], v[52:53], v[10:11], v[30:31] op_sel:[0,0,1] op_sel_hi:[1,1,0]
	v_pk_fma_f32 v[10:11], v[52:53], v[10:11], v[30:31] op_sel:[0,0,1] op_sel_hi:[1,0,0] neg_lo:[0,0,1] neg_hi:[0,0,1]
	v_mov_b32_e32 v47, v32
	v_pk_add_f32 v[52:53], v[46:47], v[50:51] neg_lo:[0,1] neg_hi:[0,1]
	v_mov_b32_e32 v33, v11
	v_mov_b32_e32 v6, v53
	v_pk_add_f32 v[52:53], v[52:53], v[6:7]
	v_pk_add_f32 v[58:59], v[22:23], v[26:27] neg_lo:[0,1] neg_hi:[0,1]
	v_fma_f32 v8, -0.5, v38, v56
	v_pk_add_f32 v[40:41], v[42:43], v[32:33] neg_lo:[0,1] neg_hi:[0,1]
	v_mov_b32_e32 v53, v59
	v_fmamk_f32 v10, v41, 0xbf737871, v8
	v_pk_mul_f32 v[52:53], v[52:53], s[12:13]
	v_pk_add_f32 v[46:47], v[50:51], v[46:47] neg_lo:[0,1] neg_hi:[0,1]
	v_sub_f32_e32 v6, v10, v53
	v_mov_b32_e32 v10, v47
	v_pk_add_f32 v[46:47], v[46:47], v[10:11]
	v_pk_add_f32 v[50:51], v[42:43], v[32:33]
	v_mov_b32_e32 v10, v56
	v_fmac_f32_e32 v10, -0.5, v50
	v_mov_b32_e32 v47, v41
	v_fmamk_f32 v20, v59, 0x3f737871, v10
	v_pk_mul_f32 v[46:47], v[46:47], s[12:13]
	v_fmac_f32_e32 v10, 0xbf737871, v59
	v_pk_add_f32 v[42:43], v[56:57], v[42:43]
	v_add_f32_e32 v10, v47, v10
	v_add_f32_e32 v38, v46, v10
	v_pk_add_f32 v[22:23], v[42:43], v[22:23]
	v_mov_b32_e32 v10, v9
	v_mov_b32_e32 v24, v21
	v_pk_add_f32 v[22:23], v[22:23], v[26:27]
	v_pk_add_f32 v[26:27], v[10:11], v[24:25] neg_lo:[0,1] neg_hi:[0,1]
	v_pk_add_f32 v[22:23], v[22:23], v[32:33]
	v_fma_f32 v33, -0.5, v39, v7
	v_mov_b32_e32 v32, v27
	v_pk_add_f32 v[26:27], v[26:27], v[32:33]
	v_fmamk_f32 v39, v40, 0x3f737871, v33
	v_mov_b32_e32 v27, v58
	v_pk_mul_f32 v[26:27], v[26:27], s[12:13]
	v_pk_add_f32 v[10:11], v[24:25], v[10:11] neg_lo:[0,1] neg_hi:[0,1]
	v_fmac_f32_e32 v8, 0x3f737871, v41
	v_sub_f32_e32 v20, v20, v47
	v_add_f32_e32 v9, v27, v39
	v_fmac_f32_e32 v33, 0xbf737871, v40
	v_mov_b32_e32 v24, v11
	v_add_f32_e32 v8, v53, v8
	v_add_f32_e32 v20, v46, v20
	;; [unrolled: 1-line block ×3, first 2 shown]
	v_sub_f32_e32 v9, v33, v27
	v_fmac_f32_e32 v7, -0.5, v51
	v_pk_add_f32 v[10:11], v[10:11], v[24:25]
	v_pk_add_f32 v[42:43], v[44:45], v[34:35]
	v_pk_add_f32 v[46:47], v[54:55], v[36:37] neg_lo:[0,1] neg_hi:[0,1]
	v_add_f32_e32 v6, v52, v6
	v_add_f32_e32 v8, v52, v8
	;; [unrolled: 1-line block ×3, first 2 shown]
	v_fmamk_f32 v9, v58, 0xbf737871, v7
	v_mov_b32_e32 v11, v40
	v_fmac_f32_e32 v7, 0x3f737871, v58
	v_pk_fma_f32 v[42:43], v[42:43], 0.5, v[48:49] op_sel_hi:[1,0,1] neg_lo:[1,0,0] neg_hi:[1,0,0]
	v_pk_mul_f32 v[50:51], v[46:47], s[14:15] op_sel_hi:[1,0]
	v_pk_add_f32 v[52:53], v[44:45], v[34:35] neg_lo:[0,1] neg_hi:[0,1]
	v_pk_add_f32 v[58:59], v[54:55], v[44:45] neg_lo:[0,1] neg_hi:[0,1]
	;; [unrolled: 1-line block ×3, first 2 shown]
	v_pk_add_f32 v[30:31], v[48:49], v[54:55]
	v_pk_mul_f32 v[10:11], v[10:11], s[12:13]
	v_pk_mul_f32 v[56:57], v[52:53], s[10:11] op_sel_hi:[1,0]
	v_pk_add_f32 v[58:59], v[58:59], v[60:61]
	v_pk_add_f32 v[60:61], v[42:43], v[50:51] op_sel:[0,1] op_sel_hi:[1,0] neg_lo:[0,1] neg_hi:[0,1]
	v_pk_add_f32 v[42:43], v[42:43], v[50:51] op_sel:[0,1] op_sel_hi:[1,0]
	s_mov_b32 s11, s16
	v_pk_add_f32 v[30:31], v[30:31], v[44:45]
	v_add_f32_e32 v9, v11, v9
	v_sub_f32_e32 v7, v7, v11
	v_pk_add_f32 v[42:43], v[42:43], v[56:57] op_sel:[0,1] op_sel_hi:[1,0]
	v_pk_add_f32 v[50:51], v[60:61], v[56:57] op_sel:[0,1] op_sel_hi:[1,0] neg_lo:[0,1] neg_hi:[0,1]
	v_pk_mul_f32 v[32:33], v[32:33], s[10:11] op_sel_hi:[0,1]
	v_pk_add_f32 v[30:31], v[30:31], v[34:35]
	v_add_f32_e32 v24, v10, v9
	v_add_f32_e32 v10, v10, v7
	v_mov_b32_e32 v56, v50
	v_mov_b32_e32 v57, v43
	v_pk_fma_f32 v[60:61], v[6:7], s[16:17], v[32:33] neg_lo:[0,0,1] neg_hi:[0,0,1]
	v_pk_fma_f32 v[6:7], v[6:7], s[16:17], v[32:33] op_sel_hi:[0,1,1]
	v_pk_add_f32 v[30:31], v[30:31], v[36:37]
	v_pk_fma_f32 v[56:57], v[58:59], s[12:13], v[56:57] op_sel_hi:[1,0,1]
	v_mov_b32_e32 v61, v7
	s_mov_b32 s15, s12
	v_pk_add_f32 v[40:41], v[30:31], v[22:23]
	v_pk_add_f32 v[6:7], v[56:57], v[60:61]
	v_pk_add_f32 v[32:33], v[44:45], v[54:55] neg_lo:[0,1] neg_hi:[0,1]
	v_pk_add_f32 v[34:35], v[34:35], v[36:37] neg_lo:[0,1] neg_hi:[0,1]
	s_mov_b32 s13, s14
	v_pk_mul_f32 v[24:25], v[24:25], s[14:15] op_sel_hi:[0,1]
	ds_write2_b64 v19, v[40:41], v[6:7] offset1:100
	v_pk_add_f32 v[6:7], v[54:55], v[36:37]
	v_pk_add_f32 v[32:33], v[32:33], v[34:35]
	v_pk_fma_f32 v[34:35], v[20:21], s[12:13], v[24:25] neg_lo:[0,0,1] neg_hi:[0,0,1]
	v_pk_fma_f32 v[20:21], v[20:21], s[12:13], v[24:25] op_sel_hi:[0,1,1]
	v_pk_fma_f32 v[6:7], v[6:7], 0.5, v[48:49] op_sel_hi:[1,0,1] neg_lo:[1,0,0] neg_hi:[1,0,0]
	v_mov_b32_e32 v35, v21
	v_pk_mul_f32 v[20:21], v[52:53], s[14:15] op_sel_hi:[1,0]
	v_pk_mul_f32 v[24:25], v[46:47], s[10:11] op_sel_hi:[1,0]
	v_pk_add_f32 v[36:37], v[6:7], v[20:21] op_sel:[0,1] op_sel_hi:[1,0]
	v_pk_add_f32 v[6:7], v[6:7], v[20:21] op_sel:[0,1] op_sel_hi:[1,0] neg_lo:[0,1] neg_hi:[0,1]
	v_pk_add_f32 v[20:21], v[36:37], v[24:25] op_sel:[0,1] op_sel_hi:[1,0] neg_lo:[0,1] neg_hi:[0,1]
	v_pk_add_f32 v[6:7], v[6:7], v[24:25] op_sel:[0,1] op_sel_hi:[1,0]
	v_mov_b32_e32 v24, v20
	v_mov_b32_e32 v25, v7
	s_mov_b32 s16, 0xbe9e377a
	s_mov_b32 s17, s14
	v_pk_mul_f32 v[10:11], v[10:11], s[14:15] op_sel_hi:[0,1]
	v_mov_b32_e32 v7, v21
	v_pk_fma_f32 v[24:25], v[32:33], s[12:13], v[24:25] op_sel_hi:[1,0,1]
	v_pk_fma_f32 v[10:11], v[38:39], s[16:17], v[10:11] op_sel_hi:[0,1,1] neg_lo:[0,0,1] neg_hi:[0,0,1]
	v_pk_fma_f32 v[6:7], v[32:33], s[12:13], v[6:7] op_sel_hi:[1,0,1]
	v_pk_add_f32 v[36:37], v[24:25], v[34:35]
	v_pk_add_f32 v[20:21], v[6:7], v[10:11]
	v_add_u32_e32 v9, 0x400, v19
	ds_write2_b64 v9, v[36:37], v[20:21] offset0:72 offset1:172
	s_mov_b32 s14, 0xbf4f1bbd
	s_mov_b32 s15, s10
	v_pk_mul_f32 v[20:21], v[26:27], s[10:11] op_sel_hi:[0,1]
	v_mov_b32_e32 v43, v51
	v_pk_fma_f32 v[8:9], v[8:9], s[14:15], v[20:21] op_sel_hi:[0,1,1] neg_lo:[0,0,1] neg_hi:[0,0,1]
	v_pk_fma_f32 v[20:21], v[58:59], s[12:13], v[42:43] op_sel_hi:[1,0,1]
	v_pk_add_f32 v[22:23], v[30:31], v[22:23] neg_lo:[0,1] neg_hi:[0,1]
	v_pk_add_f32 v[26:27], v[20:21], v[8:9]
	v_add_u32_e32 v30, 0x800, v19
	ds_write2_b64 v30, v[26:27], v[22:23] offset0:144 offset1:244
	v_pk_add_f32 v[22:23], v[56:57], v[60:61] neg_lo:[0,1] neg_hi:[0,1]
	v_pk_add_f32 v[24:25], v[24:25], v[34:35] neg_lo:[0,1] neg_hi:[0,1]
	v_add_u32_e32 v26, 0x1000, v19
	v_pk_add_f32 v[6:7], v[6:7], v[10:11] neg_lo:[0,1] neg_hi:[0,1]
	v_pk_add_f32 v[8:9], v[20:21], v[8:9] neg_lo:[0,1] neg_hi:[0,1]
	v_add_u32_e32 v10, 0x1800, v19
	ds_write2_b64 v26, v[22:23], v[24:25] offset0:88 offset1:188
	ds_write2_b64 v10, v[6:7], v[8:9] offset0:32 offset1:132
	s_waitcnt lgkmcnt(0)
	s_barrier
	s_and_saveexec_b64 s[10:11], s[6:7]
	s_cbranch_execz .LBB0_24
; %bb.23:
	s_movk_i32 s6, 0xc8
	s_load_dwordx2 s[0:1], s[0:1], 0x8
	v_subrev_u32_e32 v6, 20, v28
	v_cmp_gt_u32_e32 vcc, s6, v0
	v_mov_b32_e32 v7, 0
	v_mov_b32_e32 v58, 3
	v_cndmask_b32_e32 v6, v6, v29, vcc
	v_lshl_add_u64 v[8:9], v[6:7], 3, s[2:3]
	global_load_dwordx2 v[20:21], v[8:9], off offset:784
	v_mul_lo_u32 v8, v4, v6
	v_lshlrev_b32_sdwa v9, v58, v8 dst_sel:DWORD dst_unused:UNUSED_PAD src0_sel:DWORD src1_sel:BYTE_0
	v_lshlrev_b32_sdwa v8, v58, v8 dst_sel:DWORD dst_unused:UNUSED_PAD src0_sel:DWORD src1_sel:BYTE_1
	s_movk_i32 s6, 0x190
	s_waitcnt lgkmcnt(0)
	global_load_dwordx2 v[22:23], v9, s[0:1]
	global_load_dwordx2 v[24:25], v8, s[0:1] offset:2048
	v_subrev_u32_e32 v8, 40, v28
	v_cmp_gt_u32_e32 vcc, s6, v0
	v_mov_b32_e32 v9, v7
	s_movk_i32 s6, 0x258
	v_cndmask_b32_e32 v8, v8, v5, vcc
	v_lshl_add_u64 v[10:11], v[8:9], 3, s[2:3]
	v_add_u32_e32 v9, 0x64, v6
	v_mul_lo_u32 v9, v4, v9
	global_load_dwordx2 v[26:27], v[10:11], off offset:784
	v_lshlrev_b32_sdwa v10, v58, v9 dst_sel:DWORD dst_unused:UNUSED_PAD src0_sel:DWORD src1_sel:BYTE_1
	v_lshlrev_b32_sdwa v9, v58, v9 dst_sel:DWORD dst_unused:UNUSED_PAD src0_sel:DWORD src1_sel:BYTE_0
	global_load_dwordx2 v[30:31], v10, s[0:1] offset:2048
	global_load_dwordx2 v[32:33], v9, s[0:1]
	v_add_u32_e32 v9, 0x64, v8
	v_mul_lo_u32 v9, v4, v9
	v_lshlrev_b32_sdwa v10, v58, v9 dst_sel:DWORD dst_unused:UNUSED_PAD src0_sel:DWORD src1_sel:BYTE_1
	global_load_dwordx2 v[34:35], v10, s[0:1] offset:2048
	v_lshlrev_b32_sdwa v9, v58, v9 dst_sel:DWORD dst_unused:UNUSED_PAD src0_sel:DWORD src1_sel:BYTE_0
	global_load_dwordx2 v[36:37], v9, s[0:1]
	v_mul_lo_u32 v9, v4, v8
	v_lshlrev_b32_sdwa v10, v58, v9 dst_sel:DWORD dst_unused:UNUSED_PAD src0_sel:DWORD src1_sel:BYTE_0
	v_lshlrev_b32_sdwa v9, v58, v9 dst_sel:DWORD dst_unused:UNUSED_PAD src0_sel:DWORD src1_sel:BYTE_1
	global_load_dwordx2 v[38:39], v10, s[0:1]
	global_load_dwordx2 v[40:41], v9, s[0:1] offset:2048
	v_subrev_u32_e32 v9, 60, v28
	v_cmp_gt_u32_e32 vcc, s6, v0
	v_mov_b32_e32 v11, v7
	s_movk_i32 s6, 0x320
	v_cndmask_b32_e32 v10, v9, v3, vcc
	v_lshl_add_u64 v[42:43], v[10:11], 3, s[2:3]
	v_add_u32_e32 v9, 0x64, v10
	global_load_dwordx2 v[42:43], v[42:43], off offset:784
	v_mul_lo_u32 v9, v4, v9
	v_lshlrev_b32_sdwa v11, v58, v9 dst_sel:DWORD dst_unused:UNUSED_PAD src0_sel:DWORD src1_sel:BYTE_0
	v_lshlrev_b32_sdwa v9, v58, v9 dst_sel:DWORD dst_unused:UNUSED_PAD src0_sel:DWORD src1_sel:BYTE_1
	global_load_dwordx2 v[44:45], v9, s[0:1] offset:2048
	global_load_dwordx2 v[46:47], v11, s[0:1]
	ds_read_b64 v[48:49], v13 offset:14400
	ds_read_b64 v[50:51], v15
	ds_read_b64 v[52:53], v14
	;; [unrolled: 1-line block ×3, first 2 shown]
	v_cmp_gt_u32_e32 vcc, s6, v0
	s_movk_i32 s6, 0x3e8
	s_waitcnt vmcnt(12) lgkmcnt(3)
	v_pk_mul_f32 v[14:15], v[20:21], v[48:49] op_sel:[0,1]
	s_nop 0
	v_pk_fma_f32 v[56:57], v[20:21], v[48:49], v[14:15] op_sel:[0,0,1] op_sel_hi:[1,1,0]
	v_pk_fma_f32 v[14:15], v[20:21], v[48:49], v[14:15] op_sel:[0,0,1] op_sel_hi:[1,0,0] neg_lo:[1,0,0] neg_hi:[1,0,0]
	ds_read2_b64 v[18:21], v18 offset0:24 offset1:224
	v_mov_b32_e32 v57, v15
	s_waitcnt vmcnt(10)
	v_mul_f32_e32 v9, v23, v25
	v_mul_f32_e32 v11, v22, v25
	v_fma_f32 v9, v22, v24, -v9
	v_fmac_f32_e32 v11, v23, v24
	s_waitcnt vmcnt(9) lgkmcnt(0)
	v_pk_mul_f32 v[22:23], v[26:27], v[20:21] op_sel:[0,1]
	s_nop 0
	v_pk_fma_f32 v[24:25], v[26:27], v[20:21], v[22:23] op_sel:[0,0,1] op_sel_hi:[1,1,0]
	v_pk_fma_f32 v[20:21], v[26:27], v[20:21], v[22:23] op_sel:[0,0,1] op_sel_hi:[1,0,0] neg_lo:[1,0,0] neg_hi:[1,0,0]
	ds_read_b64 v[22:23], v17
	ds_read_b64 v[26:27], v12
	s_waitcnt vmcnt(8)
	v_mov_b32_e32 v12, v31
	s_waitcnt vmcnt(7)
	v_pk_mul_f32 v[14:15], v[32:33], v[30:31] op_sel:[1,0] op_sel_hi:[0,1]
	v_pk_mul_f32 v[12:13], v[32:33], v[12:13] op_sel:[1,0] op_sel_hi:[0,1]
	v_mov_b32_e32 v14, v15
	v_mov_b32_e32 v25, v21
	v_pk_fma_f32 v[20:21], v[32:33], v[30:31], v[12:13] neg_lo:[0,0,1] neg_hi:[0,0,1]
	v_pk_fma_f32 v[12:13], v[32:33], v[30:31], v[14:15] op_sel:[1,0,0] op_sel_hi:[0,1,1]
	s_waitcnt vmcnt(6)
	v_mov_b32_e32 v14, v35
	v_pk_add_f32 v[30:31], v[50:51], v[56:57] neg_lo:[0,1] neg_hi:[0,1]
	s_waitcnt vmcnt(5)
	v_pk_mul_f32 v[14:15], v[36:37], v[14:15] op_sel:[1,0] op_sel_hi:[0,1]
	v_pk_fma_f32 v[32:33], v[36:37], v[34:35], v[14:15] neg_lo:[0,0,1] neg_hi:[0,0,1]
	v_pk_mul_f32 v[14:15], v[30:31], v[12:13] op_sel_hi:[1,0]
	v_fma_f32 v17, v51, 2.0, -v31
	v_fma_f32 v48, v50, 2.0, -v30
	v_pk_fma_f32 v[12:13], v[30:31], v[20:21], v[14:15] op_sel:[0,0,1] op_sel_hi:[1,1,0]
	v_pk_fma_f32 v[14:15], v[30:31], v[20:21], v[14:15] op_sel:[0,0,1] op_sel_hi:[1,0,0] neg_lo:[0,0,1] neg_hi:[0,0,1]
	v_pk_mul_f32 v[30:31], v[36:37], v[34:35] op_sel:[1,0] op_sel_hi:[0,1]
	v_mov_b32_e32 v14, v31
	s_waitcnt lgkmcnt(1)
	v_pk_add_f32 v[24:25], v[22:23], v[24:25] neg_lo:[0,1] neg_hi:[0,1]
	v_mul_f32_e32 v13, v48, v11
	v_pk_fma_f32 v[30:31], v[36:37], v[34:35], v[14:15] op_sel:[1,0,0] op_sel_hi:[0,1,1]
	s_waitcnt vmcnt(3)
	v_mul_f32_e32 v14, v38, v41
	v_mul_f32_e32 v20, v17, v11
	v_fma_f32 v21, v17, v9, -v13
	v_mul_f32_e32 v11, v39, v41
	v_fma_f32 v13, v22, 2.0, -v24
	v_fmac_f32_e32 v14, v39, v40
	v_fmac_f32_e32 v20, v48, v9
	v_fma_f32 v9, v23, 2.0, -v25
	v_fma_f32 v11, v38, v40, -v11
	v_mul_f32_e32 v17, v13, v14
	v_pk_mul_f32 v[30:31], v[24:25], v[30:31] op_sel_hi:[1,0]
	v_fma_f32 v23, v9, v11, -v17
	v_mul_f32_e32 v22, v9, v14
	v_mul_lo_u32 v9, v4, v10
	v_pk_fma_f32 v[34:35], v[24:25], v[32:33], v[30:31] op_sel:[0,0,1] op_sel_hi:[1,1,0]
	v_pk_fma_f32 v[30:31], v[24:25], v[32:33], v[30:31] op_sel:[0,0,1] op_sel_hi:[1,0,0] neg_lo:[0,0,1] neg_hi:[0,0,1]
	v_fmac_f32_e32 v22, v13, v11
	s_waitcnt vmcnt(2)
	v_pk_mul_f32 v[24:25], v[42:43], v[18:19] op_sel:[0,1]
	v_lshlrev_b32_sdwa v11, v58, v9 dst_sel:DWORD dst_unused:UNUSED_PAD src0_sel:DWORD src1_sel:BYTE_0
	v_pk_fma_f32 v[32:33], v[42:43], v[18:19], v[24:25] op_sel:[0,0,1] op_sel_hi:[1,1,0]
	v_pk_fma_f32 v[18:19], v[42:43], v[18:19], v[24:25] op_sel:[0,0,1] op_sel_hi:[1,0,0] neg_lo:[1,0,0] neg_hi:[1,0,0]
	v_lshlrev_b32_sdwa v9, v58, v9 dst_sel:DWORD dst_unused:UNUSED_PAD src0_sel:DWORD src1_sel:BYTE_1
	global_load_dwordx2 v[24:25], v11, s[0:1]
	global_load_dwordx2 v[36:37], v9, s[0:1] offset:2048
	s_waitcnt vmcnt(2)
	v_pk_mul_f32 v[40:41], v[46:47], v[44:45] op_sel:[1,0] op_sel_hi:[0,1]
	v_add_u32_e32 v9, 0xffffffb0, v28
	v_cndmask_b32_e32 v40, v9, v1, vcc
	v_add_u32_e32 v9, 0x64, v40
	v_mul_lo_u32 v9, v4, v9
	v_mov_b32_e32 v14, v45
	v_lshlrev_b32_sdwa v11, v58, v9 dst_sel:DWORD dst_unused:UNUSED_PAD src0_sel:DWORD src1_sel:BYTE_0
	v_pk_mul_f32 v[38:39], v[46:47], v[14:15] op_sel:[1,0] op_sel_hi:[0,1]
	v_mov_b32_e32 v14, v41
	v_lshlrev_b32_sdwa v9, v58, v9 dst_sel:DWORD dst_unused:UNUSED_PAD src0_sel:DWORD src1_sel:BYTE_1
	global_load_dwordx2 v[42:43], v11, s[0:1]
	global_load_dwordx2 v[48:49], v9, s[0:1] offset:2048
	v_mov_b32_e32 v41, v7
	v_pk_fma_f32 v[38:39], v[46:47], v[44:45], v[38:39] neg_lo:[0,0,1] neg_hi:[0,0,1]
	v_pk_fma_f32 v[44:45], v[46:47], v[44:45], v[14:15] op_sel:[1,0,0] op_sel_hi:[0,1,1]
	v_lshl_add_u64 v[46:47], v[40:41], 3, s[2:3]
	global_load_dwordx2 v[46:47], v[46:47], off offset:784
	v_mul_lo_u32 v9, v4, v40
	v_lshlrev_b32_sdwa v11, v58, v9 dst_sel:DWORD dst_unused:UNUSED_PAD src0_sel:DWORD src1_sel:BYTE_0
	v_lshlrev_b32_sdwa v9, v58, v9 dst_sel:DWORD dst_unused:UNUSED_PAD src0_sel:DWORD src1_sel:BYTE_1
	global_load_dwordx2 v[50:51], v11, s[0:1]
	global_load_dwordx2 v[56:57], v9, s[0:1] offset:2048
	v_mov_b32_e32 v33, v19
	v_pk_add_f32 v[18:19], v[52:53], v[32:33] neg_lo:[0,1] neg_hi:[0,1]
	v_cmp_gt_u32_e32 vcc, s6, v0
	v_fma_f32 v13, v52, 2.0, -v18
	v_pk_mul_f32 v[32:33], v[18:19], v[44:45] op_sel_hi:[1,0]
	v_fma_f32 v9, v53, 2.0, -v19
	v_pk_fma_f32 v[44:45], v[18:19], v[38:39], v[32:33] op_sel:[0,0,1] op_sel_hi:[1,1,0]
	v_pk_fma_f32 v[32:33], v[18:19], v[38:39], v[32:33] op_sel:[0,0,1] op_sel_hi:[1,0,0] neg_lo:[0,0,1] neg_hi:[0,0,1]
	v_mov_b32_e32 v35, v31
	v_mov_b32_e32 v45, v33
	s_waitcnt vmcnt(5)
	v_mul_f32_e32 v14, v24, v37
	v_mul_f32_e32 v11, v25, v37
	v_fmac_f32_e32 v14, v25, v36
	v_fma_f32 v11, v24, v36, -v11
	v_mul_f32_e32 v17, v13, v14
	v_fma_f32 v25, v9, v11, -v17
	ds_read2_b64 v[16:19], v16 offset0:40 offset1:240
	v_mul_f32_e32 v24, v9, v14
	v_fmac_f32_e32 v24, v13, v11
	v_add_u32_e32 v13, 0xffffff9c, v28
	s_waitcnt vmcnt(3)
	v_mov_b32_e32 v14, v49
	v_pk_mul_f32 v[38:39], v[42:43], v[48:49] op_sel:[1,0] op_sel_hi:[0,1]
	v_pk_mul_f32 v[36:37], v[42:43], v[14:15] op_sel:[1,0] op_sel_hi:[0,1]
	v_mov_b32_e32 v14, v39
	v_pk_fma_f32 v[36:37], v[42:43], v[48:49], v[36:37] neg_lo:[0,0,1] neg_hi:[0,0,1]
	v_pk_fma_f32 v[38:39], v[42:43], v[48:49], v[14:15] op_sel:[1,0,0] op_sel_hi:[0,1,1]
	s_waitcnt vmcnt(2) lgkmcnt(0)
	v_pk_mul_f32 v[42:43], v[46:47], v[18:19] op_sel:[0,1]
	s_waitcnt vmcnt(0)
	v_mul_f32_e32 v9, v51, v57
	v_pk_fma_f32 v[48:49], v[46:47], v[18:19], v[42:43] op_sel:[0,0,1] op_sel_hi:[1,1,0]
	v_pk_fma_f32 v[18:19], v[46:47], v[18:19], v[42:43] op_sel:[0,0,1] op_sel_hi:[1,0,0] neg_lo:[1,0,0] neg_hi:[1,0,0]
	v_mul_f32_e32 v11, v50, v57
	v_cndmask_b32_e32 v18, v13, v28, vcc
	v_add_u32_e32 v13, 0x64, v18
	v_mul_lo_u32 v13, v4, v13
	v_lshlrev_b32_sdwa v14, v58, v13 dst_sel:DWORD dst_unused:UNUSED_PAD src0_sel:DWORD src1_sel:BYTE_0
	v_lshlrev_b32_sdwa v13, v58, v13 dst_sel:DWORD dst_unused:UNUSED_PAD src0_sel:DWORD src1_sel:BYTE_1
	v_mov_b32_e32 v49, v19
	global_load_dwordx2 v[42:43], v13, s[0:1] offset:2048
	global_load_dwordx2 v[46:47], v14, s[0:1]
	v_pk_add_f32 v[48:49], v[26:27], v[48:49] neg_lo:[0,1] neg_hi:[0,1]
	v_mul_lo_u32 v4, v4, v18
	v_pk_mul_f32 v[38:39], v[48:49], v[38:39] op_sel_hi:[1,0]
	v_lshlrev_b32_sdwa v13, v58, v4 dst_sel:DWORD dst_unused:UNUSED_PAD src0_sel:DWORD src1_sel:BYTE_0
	v_lshlrev_b32_sdwa v4, v58, v4 dst_sel:DWORD dst_unused:UNUSED_PAD src0_sel:DWORD src1_sel:BYTE_1
	v_mov_b32_e32 v19, v7
	v_fma_f32 v9, v50, v56, -v9
	v_fmac_f32_e32 v11, v51, v56
	v_pk_fma_f32 v[50:51], v[48:49], v[36:37], v[38:39] op_sel:[0,0,1] op_sel_hi:[1,1,0]
	v_pk_fma_f32 v[36:37], v[48:49], v[36:37], v[38:39] op_sel:[0,0,1] op_sel_hi:[1,0,0] neg_lo:[0,0,1] neg_hi:[0,0,1]
	global_load_dwordx2 v[38:39], v13, s[0:1]
	global_load_dwordx2 v[52:53], v4, s[0:1] offset:2048
	v_fma_f32 v4, v27, 2.0, -v49
	v_fma_f32 v13, v26, 2.0, -v48
	v_lshl_add_u64 v[48:49], v[18:19], 3, s[2:3]
	global_load_dwordx2 v[48:49], v[48:49], off offset:784
	v_mul_f32_e32 v14, v13, v11
	s_movk_i32 s0, 0x3e7
	v_fma_f32 v27, v4, v9, -v14
	v_mul_f32_e32 v26, v4, v11
	v_mov_b32_e32 v4, 0xc8
	v_cmp_lt_u32_e32 vcc, s0, v0
	v_fmac_f32_e32 v26, v13, v9
	v_mov_b32_e32 v51, v37
	v_cndmask_b32_e32 v0, 0, v4, vcc
	v_add_u32_e32 v4, v18, v0
	s_waitcnt vmcnt(4)
	v_mov_b32_e32 v0, v43
	s_waitcnt vmcnt(3)
	v_pk_mul_f32 v[56:57], v[46:47], v[42:43] op_sel:[1,0] op_sel_hi:[0,1]
	v_pk_mul_f32 v[18:19], v[46:47], v[0:1] op_sel:[1,0] op_sel_hi:[0,1]
	v_mov_b32_e32 v0, v57
	v_pk_fma_f32 v[18:19], v[46:47], v[42:43], v[18:19] neg_lo:[0,0,1] neg_hi:[0,0,1]
	v_pk_fma_f32 v[42:43], v[46:47], v[42:43], v[0:1] op_sel:[1,0,0] op_sel_hi:[0,1,1]
	v_add_u32_e32 v0, s5, v2
	v_mad_u64_u32 v[46:47], s[0:1], s4, v4, v[0:1]
	v_add_u32_e32 v4, 0x64, v4
	v_mov_b32_e32 v47, v7
	v_lshl_add_u64 v[46:47], v[46:47], 3, s[8:9]
	s_waitcnt vmcnt(1)
	v_mul_f32_e32 v2, v39, v53
	v_mul_f32_e32 v9, v38, v53
	v_fma_f32 v2, v38, v52, -v2
	v_fmac_f32_e32 v9, v52, v39
	s_waitcnt vmcnt(0)
	v_pk_mul_f32 v[52:53], v[48:49], v[16:17] op_sel:[0,1]
	v_mad_u64_u32 v[38:39], s[0:1], s4, v4, v[0:1]
	v_pk_fma_f32 v[56:57], v[48:49], v[16:17], v[52:53] op_sel:[0,0,1] op_sel_hi:[1,1,0]
	v_pk_fma_f32 v[16:17], v[48:49], v[16:17], v[52:53] op_sel:[0,0,1] op_sel_hi:[1,0,0] neg_lo:[1,0,0] neg_hi:[1,0,0]
	v_mov_b32_e32 v39, v7
	v_mov_b32_e32 v57, v17
	v_pk_add_f32 v[16:17], v[54:55], v[56:57] neg_lo:[0,1] neg_hi:[0,1]
	v_lshl_add_u64 v[38:39], v[38:39], 3, s[8:9]
	v_fma_f32 v11, v54, 2.0, -v16
	v_pk_mul_f32 v[42:43], v[16:17], v[42:43] op_sel_hi:[1,0]
	v_fma_f32 v4, v55, 2.0, -v17
	v_mul_f32_e32 v13, v9, v11
	v_pk_fma_f32 v[48:49], v[16:17], v[18:19], v[42:43] op_sel:[0,0,1] op_sel_hi:[1,1,0]
	v_pk_fma_f32 v[18:19], v[16:17], v[18:19], v[42:43] op_sel:[0,0,1] op_sel_hi:[1,0,0] neg_lo:[0,0,1] neg_hi:[0,0,1]
	v_fma_f32 v17, v4, v2, -v13
	v_mul_f32_e32 v16, v2, v11
	v_sub_u32_e32 v2, v1, v40
	v_fmac_f32_e32 v16, v4, v9
	v_add_u32_e32 v1, v2, v1
	global_store_dwordx2 v[46:47], v[16:17], off
	v_mad_u64_u32 v[16:17], s[0:1], s4, v1, v[0:1]
	v_mov_b32_e32 v17, v7
	v_mov_b32_e32 v49, v19
	v_lshl_add_u64 v[16:17], v[16:17], 3, s[8:9]
	v_add_u32_e32 v1, 0x64, v1
	global_store_dwordx2 v[38:39], v[48:49], off
	global_store_dwordx2 v[16:17], v[26:27], off
	v_mad_u64_u32 v[16:17], s[0:1], s4, v1, v[0:1]
	v_sub_u32_e32 v1, v3, v10
	v_add_u32_e32 v1, v1, v3
	v_mad_u64_u32 v[2:3], s[0:1], s4, v1, v[0:1]
	v_mov_b32_e32 v17, v7
	v_mov_b32_e32 v3, v7
	v_lshl_add_u64 v[16:17], v[16:17], 3, s[8:9]
	v_lshl_add_u64 v[2:3], v[2:3], 3, s[8:9]
	v_add_u32_e32 v1, 0x64, v1
	global_store_dwordx2 v[16:17], v[50:51], off
	global_store_dwordx2 v[2:3], v[24:25], off
	v_mad_u64_u32 v[2:3], s[0:1], s4, v1, v[0:1]
	v_mov_b32_e32 v3, v7
	v_sub_u32_e32 v1, v5, v8
	v_lshl_add_u64 v[2:3], v[2:3], 3, s[8:9]
	v_add_u32_e32 v1, v1, v5
	global_store_dwordx2 v[2:3], v[44:45], off
	v_mad_u64_u32 v[2:3], s[0:1], s4, v1, v[0:1]
	v_mov_b32_e32 v3, v7
	v_lshl_add_u64 v[2:3], v[2:3], 3, s[8:9]
	v_add_u32_e32 v1, 0x64, v1
	global_store_dwordx2 v[2:3], v[22:23], off
	v_mad_u64_u32 v[2:3], s[0:1], s4, v1, v[0:1]
	v_mov_b32_e32 v3, v7
	v_sub_u32_e32 v1, v29, v6
	v_lshl_add_u64 v[2:3], v[2:3], 3, s[8:9]
	v_add_u32_e32 v1, v1, v29
	global_store_dwordx2 v[2:3], v[34:35], off
	v_mad_u64_u32 v[2:3], s[0:1], s4, v1, v[0:1]
	v_add_u32_e32 v1, 0x64, v1
	v_mad_u64_u32 v[0:1], s[0:1], s4, v1, v[0:1]
	v_mov_b32_e32 v3, v7
	v_mov_b32_e32 v1, v7
	v_lshl_add_u64 v[2:3], v[2:3], 3, s[8:9]
	v_lshl_add_u64 v[0:1], v[0:1], 3, s[8:9]
	v_mov_b32_e32 v13, v15
	global_store_dwordx2 v[2:3], v[20:21], off
	global_store_dwordx2 v[0:1], v[12:13], off
.LBB0_24:
	s_endpgm
	.section	.rodata,"a",@progbits
	.p2align	6, 0x0
	.amdhsa_kernel fft_rtc_back_len200_factors_2_5_10_2_wgs_200_tpt_20_dim2_sp_ip_CI_sbcc_twdbase8_2step_dirReg_intrinsicReadWrite
		.amdhsa_group_segment_fixed_size 0
		.amdhsa_private_segment_fixed_size 0
		.amdhsa_kernarg_size 88
		.amdhsa_user_sgpr_count 2
		.amdhsa_user_sgpr_dispatch_ptr 0
		.amdhsa_user_sgpr_queue_ptr 0
		.amdhsa_user_sgpr_kernarg_segment_ptr 1
		.amdhsa_user_sgpr_dispatch_id 0
		.amdhsa_user_sgpr_kernarg_preload_length 0
		.amdhsa_user_sgpr_kernarg_preload_offset 0
		.amdhsa_user_sgpr_private_segment_size 0
		.amdhsa_uses_dynamic_stack 0
		.amdhsa_enable_private_segment 0
		.amdhsa_system_sgpr_workgroup_id_x 1
		.amdhsa_system_sgpr_workgroup_id_y 0
		.amdhsa_system_sgpr_workgroup_id_z 0
		.amdhsa_system_sgpr_workgroup_info 0
		.amdhsa_system_vgpr_workitem_id 0
		.amdhsa_next_free_vgpr 62
		.amdhsa_next_free_sgpr 21
		.amdhsa_accum_offset 64
		.amdhsa_reserve_vcc 1
		.amdhsa_float_round_mode_32 0
		.amdhsa_float_round_mode_16_64 0
		.amdhsa_float_denorm_mode_32 3
		.amdhsa_float_denorm_mode_16_64 3
		.amdhsa_dx10_clamp 1
		.amdhsa_ieee_mode 1
		.amdhsa_fp16_overflow 0
		.amdhsa_tg_split 0
		.amdhsa_exception_fp_ieee_invalid_op 0
		.amdhsa_exception_fp_denorm_src 0
		.amdhsa_exception_fp_ieee_div_zero 0
		.amdhsa_exception_fp_ieee_overflow 0
		.amdhsa_exception_fp_ieee_underflow 0
		.amdhsa_exception_fp_ieee_inexact 0
		.amdhsa_exception_int_div_zero 0
	.end_amdhsa_kernel
	.text
.Lfunc_end0:
	.size	fft_rtc_back_len200_factors_2_5_10_2_wgs_200_tpt_20_dim2_sp_ip_CI_sbcc_twdbase8_2step_dirReg_intrinsicReadWrite, .Lfunc_end0-fft_rtc_back_len200_factors_2_5_10_2_wgs_200_tpt_20_dim2_sp_ip_CI_sbcc_twdbase8_2step_dirReg_intrinsicReadWrite
                                        ; -- End function
	.section	.AMDGPU.csdata,"",@progbits
; Kernel info:
; codeLenInByte = 5956
; NumSgprs: 27
; NumVgprs: 62
; NumAgprs: 0
; TotalNumVgprs: 62
; ScratchSize: 0
; MemoryBound: 0
; FloatMode: 240
; IeeeMode: 1
; LDSByteSize: 0 bytes/workgroup (compile time only)
; SGPRBlocks: 3
; VGPRBlocks: 7
; NumSGPRsForWavesPerEU: 27
; NumVGPRsForWavesPerEU: 62
; AccumOffset: 64
; Occupancy: 8
; WaveLimiterHint : 1
; COMPUTE_PGM_RSRC2:SCRATCH_EN: 0
; COMPUTE_PGM_RSRC2:USER_SGPR: 2
; COMPUTE_PGM_RSRC2:TRAP_HANDLER: 0
; COMPUTE_PGM_RSRC2:TGID_X_EN: 1
; COMPUTE_PGM_RSRC2:TGID_Y_EN: 0
; COMPUTE_PGM_RSRC2:TGID_Z_EN: 0
; COMPUTE_PGM_RSRC2:TIDIG_COMP_CNT: 0
; COMPUTE_PGM_RSRC3_GFX90A:ACCUM_OFFSET: 15
; COMPUTE_PGM_RSRC3_GFX90A:TG_SPLIT: 0
	.text
	.p2alignl 6, 3212836864
	.fill 256, 4, 3212836864
	.type	__hip_cuid_4336fa86f067c381,@object ; @__hip_cuid_4336fa86f067c381
	.section	.bss,"aw",@nobits
	.globl	__hip_cuid_4336fa86f067c381
__hip_cuid_4336fa86f067c381:
	.byte	0                               ; 0x0
	.size	__hip_cuid_4336fa86f067c381, 1

	.ident	"AMD clang version 19.0.0git (https://github.com/RadeonOpenCompute/llvm-project roc-6.4.0 25133 c7fe45cf4b819c5991fe208aaa96edf142730f1d)"
	.section	".note.GNU-stack","",@progbits
	.addrsig
	.addrsig_sym __hip_cuid_4336fa86f067c381
	.amdgpu_metadata
---
amdhsa.kernels:
  - .agpr_count:     0
    .args:
      - .actual_access:  read_only
        .address_space:  global
        .offset:         0
        .size:           8
        .value_kind:     global_buffer
      - .address_space:  global
        .offset:         8
        .size:           8
        .value_kind:     global_buffer
      - .actual_access:  read_only
        .address_space:  global
        .offset:         16
        .size:           8
        .value_kind:     global_buffer
      - .actual_access:  read_only
        .address_space:  global
        .offset:         24
        .size:           8
        .value_kind:     global_buffer
      - .offset:         32
        .size:           8
        .value_kind:     by_value
      - .actual_access:  read_only
        .address_space:  global
        .offset:         40
        .size:           8
        .value_kind:     global_buffer
      - .actual_access:  read_only
        .address_space:  global
        .offset:         48
        .size:           8
        .value_kind:     global_buffer
      - .offset:         56
        .size:           4
        .value_kind:     by_value
      - .actual_access:  read_only
        .address_space:  global
        .offset:         64
        .size:           8
        .value_kind:     global_buffer
      - .actual_access:  read_only
        .address_space:  global
        .offset:         72
        .size:           8
        .value_kind:     global_buffer
      - .address_space:  global
        .offset:         80
        .size:           8
        .value_kind:     global_buffer
    .group_segment_fixed_size: 0
    .kernarg_segment_align: 8
    .kernarg_segment_size: 88
    .language:       OpenCL C
    .language_version:
      - 2
      - 0
    .max_flat_workgroup_size: 200
    .name:           fft_rtc_back_len200_factors_2_5_10_2_wgs_200_tpt_20_dim2_sp_ip_CI_sbcc_twdbase8_2step_dirReg_intrinsicReadWrite
    .private_segment_fixed_size: 0
    .sgpr_count:     27
    .sgpr_spill_count: 0
    .symbol:         fft_rtc_back_len200_factors_2_5_10_2_wgs_200_tpt_20_dim2_sp_ip_CI_sbcc_twdbase8_2step_dirReg_intrinsicReadWrite.kd
    .uniform_work_group_size: 1
    .uses_dynamic_stack: false
    .vgpr_count:     62
    .vgpr_spill_count: 0
    .wavefront_size: 64
amdhsa.target:   amdgcn-amd-amdhsa--gfx950
amdhsa.version:
  - 1
  - 2
...

	.end_amdgpu_metadata
